;; amdgpu-corpus repo=zjin-lcf/HeCBench kind=compiled arch=gfx1250 opt=O3
	.amdgcn_target "amdgcn-amd-amdhsa--gfx1250"
	.amdhsa_code_object_version 6
	.text
	.protected	_Z12crc64_kernelPmS_PKhPKmS3_mi ; -- Begin function _Z12crc64_kernelPmS_PKhPKmS3_mi
	.globl	_Z12crc64_kernelPmS_PKhPKmS3_mi
	.p2align	8
	.type	_Z12crc64_kernelPmS_PKhPKmS3_mi,@function
_Z12crc64_kernelPmS_PKhPKmS3_mi:        ; @_Z12crc64_kernelPmS_PKhPKmS3_mi
; %bb.0:
	s_clause 0x2
	s_load_b32 s2, s[0:1], 0x30
	s_load_b128 s[12:15], s[0:1], 0x20
	s_load_b256 s[4:11], s[0:1], 0x0
	s_wait_kmcnt 0x0
	s_ashr_i32 s3, s2, 31
	s_delay_alu instid0(SALU_CYCLE_1) | instskip(NEXT) | instid1(SALU_CYCLE_1)
	s_or_b64 s[16:17], s[14:15], s[2:3]
	s_and_b64 s[16:17], s[16:17], 0xffffffff00000000
	s_delay_alu instid0(SALU_CYCLE_1)
	s_cmp_lg_u64 s[16:17], 0
	s_cbranch_scc0 .LBB0_20
; %bb.1:
	s_cvt_f32_u32 s16, s2
	s_cvt_f32_u32 s17, s3
	s_sub_nc_u64 s[20:21], 0, s[2:3]
	s_delay_alu instid0(SALU_CYCLE_2) | instskip(NEXT) | instid1(SALU_CYCLE_3)
	s_fmamk_f32 s16, s17, 0x4f800000, s16
	v_s_rcp_f32 s16, s16
	s_delay_alu instid0(TRANS32_DEP_1) | instskip(NEXT) | instid1(SALU_CYCLE_3)
	s_mul_f32 s16, s16, 0x5f7ffffc
	s_mul_f32 s17, s16, 0x2f800000
	s_delay_alu instid0(SALU_CYCLE_3) | instskip(NEXT) | instid1(SALU_CYCLE_3)
	s_trunc_f32 s17, s17
	s_fmamk_f32 s16, s17, 0xcf800000, s16
	s_cvt_u32_f32 s19, s17
	s_mov_b32 s17, 0
	s_delay_alu instid0(SALU_CYCLE_1) | instskip(NEXT) | instid1(SALU_CYCLE_3)
	s_cvt_u32_f32 s18, s16
	s_mul_u64 s[22:23], s[20:21], s[18:19]
	s_delay_alu instid0(SALU_CYCLE_1)
	s_mul_hi_u32 s25, s18, s23
	s_mul_i32 s24, s18, s23
	s_mul_hi_u32 s16, s18, s22
	s_mul_i32 s27, s19, s22
	s_add_nc_u64 s[24:25], s[16:17], s[24:25]
	s_mul_hi_u32 s26, s19, s22
	s_mul_hi_u32 s28, s19, s23
	s_add_co_u32 s16, s24, s27
	s_add_co_ci_u32 s16, s25, s26
	s_mul_i32 s22, s19, s23
	s_add_co_ci_u32 s23, s28, 0
	s_delay_alu instid0(SALU_CYCLE_1) | instskip(NEXT) | instid1(SALU_CYCLE_1)
	s_add_nc_u64 s[22:23], s[16:17], s[22:23]
	s_add_co_u32 s18, s18, s22
	s_cselect_b32 s16, -1, 0
	s_delay_alu instid0(SALU_CYCLE_1) | instskip(SKIP_1) | instid1(SALU_CYCLE_1)
	s_cmp_lg_u32 s16, 0
	s_add_co_ci_u32 s19, s19, s23
	s_mul_u64 s[20:21], s[20:21], s[18:19]
	s_delay_alu instid0(SALU_CYCLE_1)
	s_mul_hi_u32 s23, s18, s21
	s_mul_i32 s22, s18, s21
	s_mul_hi_u32 s16, s18, s20
	s_mul_i32 s25, s19, s20
	s_add_nc_u64 s[22:23], s[16:17], s[22:23]
	s_mul_hi_u32 s24, s19, s20
	s_mul_hi_u32 s26, s19, s21
	s_add_co_u32 s16, s22, s25
	s_add_co_ci_u32 s16, s23, s24
	s_mul_i32 s20, s19, s21
	s_add_co_ci_u32 s21, s26, 0
	s_delay_alu instid0(SALU_CYCLE_1) | instskip(NEXT) | instid1(SALU_CYCLE_1)
	s_add_nc_u64 s[20:21], s[16:17], s[20:21]
	s_add_co_u32 s18, s18, s20
	s_cselect_b32 s20, -1, 0
	s_mul_hi_u32 s16, s14, s18
	s_cmp_lg_u32 s20, 0
	s_mul_hi_u32 s22, s15, s18
	s_add_co_ci_u32 s20, s19, s21
	s_mul_i32 s21, s15, s18
	s_mul_hi_u32 s19, s14, s20
	s_mul_i32 s18, s14, s20
	s_mul_hi_u32 s23, s15, s20
	s_add_nc_u64 s[18:19], s[16:17], s[18:19]
	s_mul_i32 s20, s15, s20
	s_add_co_u32 s16, s18, s21
	s_add_co_ci_u32 s16, s19, s22
	s_add_co_ci_u32 s21, s23, 0
	s_delay_alu instid0(SALU_CYCLE_1) | instskip(NEXT) | instid1(SALU_CYCLE_1)
	s_add_nc_u64 s[18:19], s[16:17], s[20:21]
	s_and_b64 s[20:21], s[18:19], 0xffffffff00000000
	s_delay_alu instid0(SALU_CYCLE_1) | instskip(NEXT) | instid1(SALU_CYCLE_1)
	s_or_b32 s20, s20, s18
	s_mul_u64 s[18:19], s[2:3], s[20:21]
	s_delay_alu instid0(SALU_CYCLE_1)
	s_sub_co_u32 s16, s14, s18
	s_cselect_b32 s18, -1, 0
	s_sub_co_i32 s22, s15, s19
	s_cmp_lg_u32 s18, 0
	s_sub_co_ci_u32 s22, s22, s3
	s_sub_co_u32 s23, s16, s2
	s_cselect_b32 s24, -1, 0
	s_delay_alu instid0(SALU_CYCLE_1) | instskip(SKIP_1) | instid1(SALU_CYCLE_1)
	s_cmp_lg_u32 s24, 0
	s_sub_co_ci_u32 s22, s22, 0
	s_cmp_ge_u32 s22, s3
	s_cselect_b32 s24, -1, 0
	s_cmp_ge_u32 s23, s2
	s_cselect_b32 s25, -1, 0
	s_cmp_eq_u32 s22, s3
	s_add_nc_u64 s[22:23], s[20:21], 1
	s_cselect_b32 s26, s25, s24
	s_add_nc_u64 s[24:25], s[20:21], 2
	s_cmp_lg_u32 s26, 0
	s_cselect_b32 s22, s24, s22
	s_cselect_b32 s23, s25, s23
	s_cmp_lg_u32 s18, 0
	s_sub_co_ci_u32 s18, s15, s19
	s_delay_alu instid0(SALU_CYCLE_1)
	s_cmp_ge_u32 s18, s3
	s_cselect_b32 s19, -1, 0
	s_cmp_ge_u32 s16, s2
	s_cselect_b32 s16, -1, 0
	s_cmp_eq_u32 s18, s3
	s_cselect_b32 s3, s16, s19
	s_delay_alu instid0(SALU_CYCLE_1)
	s_cmp_lg_u32 s3, 0
	s_cselect_b32 s19, s23, s21
	s_cselect_b32 s18, s22, s20
	s_load_b32 s0, s[0:1], 0x44
	s_cbranch_execnz .LBB0_3
.LBB0_2:
	v_cvt_f32_u32_e32 v1, s2
	s_sub_co_i32 s3, 0, s2
	s_mov_b32 s19, 0
	s_delay_alu instid0(VALU_DEP_1) | instskip(SKIP_1) | instid1(TRANS32_DEP_1)
	v_rcp_iflag_f32_e32 v1, v1
	v_nop
	v_mul_f32_e32 v1, 0x4f7ffffe, v1
	s_delay_alu instid0(VALU_DEP_1) | instskip(SKIP_1) | instid1(VALU_DEP_1)
	v_cvt_u32_f32_e32 v1, v1
	s_wait_xcnt 0x0
	v_readfirstlane_b32 s1, v1
	s_mul_i32 s3, s3, s1
	s_delay_alu instid0(SALU_CYCLE_1) | instskip(NEXT) | instid1(SALU_CYCLE_1)
	s_mul_hi_u32 s3, s1, s3
	s_add_co_i32 s1, s1, s3
	s_delay_alu instid0(SALU_CYCLE_1) | instskip(NEXT) | instid1(SALU_CYCLE_1)
	s_mul_hi_u32 s1, s14, s1
	s_mul_i32 s3, s1, s2
	s_add_co_i32 s16, s1, 1
	s_sub_co_i32 s3, s14, s3
	s_delay_alu instid0(SALU_CYCLE_1)
	s_sub_co_i32 s17, s3, s2
	s_cmp_ge_u32 s3, s2
	s_cselect_b32 s1, s16, s1
	s_cselect_b32 s3, s17, s3
	s_add_co_i32 s16, s1, 1
	s_cmp_ge_u32 s3, s2
	s_cselect_b32 s18, s16, s1
.LBB0_3:
	s_wait_xcnt 0x0
	s_bfe_u32 s1, ttmp6, 0x4000c
	s_and_b32 s3, ttmp6, 15
	s_add_co_i32 s1, s1, 1
	s_getreg_b32 s16, hwreg(HW_REG_IB_STS2, 6, 4)
	s_mul_i32 s1, ttmp9, s1
	s_wait_kmcnt 0x0
	s_and_b32 s0, 0xffff, s0
	s_add_co_i32 s3, s3, s1
	s_cmp_eq_u32 s16, 0
	v_mov_b64_e32 v[14:15], -1
	s_cselect_b32 s1, ttmp9, s3
	s_add_co_i32 s2, s2, -1
	v_mad_u32 v4, s1, s0, v0
	s_add_nc_u64 s[0:1], s[8:9], s[14:15]
	s_delay_alu instid0(VALU_DEP_1) | instskip(SKIP_3) | instid1(VALU_DEP_3)
	v_mad_nc_u64_u32 v[8:9], s18, v4, s[8:9]
	v_ashrrev_i32_e32 v5, 31, v4
	v_cmp_eq_u32_e32 vcc_lo, s2, v4
	s_mov_b32 s2, 0
	v_mad_u32 v0, s19, v4, v9
	s_delay_alu instid0(VALU_DEP_1) | instskip(NEXT) | instid1(VALU_DEP_1)
	v_mad_u32 v9, s18, v5, v0
	v_add_nc_u64_e32 v[0:1], s[18:19], v[8:9]
	s_delay_alu instid0(VALU_DEP_1) | instskip(NEXT) | instid1(VALU_DEP_2)
	v_cndmask_b32_e64 v13, v1, s1, vcc_lo
	v_cndmask_b32_e64 v12, v0, s0, vcc_lo
	s_mov_b32 s1, exec_lo
	s_delay_alu instid0(VALU_DEP_1) | instskip(NEXT) | instid1(VALU_DEP_1)
	v_sub_nc_u64_e32 v[0:1], v[12:13], v[8:9]
	v_add_nc_u64_e32 v[6:7], v[8:9], v[0:1]
	global_store_b64 v4, v[0:1], s[4:5] scale_offset
	s_wait_xcnt 0x0
	v_cmpx_ne_u64_e64 v[12:13], v[8:9]
	s_cbranch_execz .LBB0_9
; %bb.4:
	v_mov_b64_e32 v[14:15], -1
	v_mov_b32_e32 v1, 0
                                        ; implicit-def: $sgpr3
	s_branch .LBB0_6
.LBB0_5:                                ;   in Loop: Header=BB0_6 Depth=1
	s_wait_xcnt 0x0
	s_or_b32 exec_lo, exec_lo, s0
	s_delay_alu instid0(SALU_CYCLE_1) | instskip(NEXT) | instid1(SALU_CYCLE_1)
	s_and_b32 s0, exec_lo, s3
	s_or_b32 s2, s0, s2
	s_delay_alu instid0(SALU_CYCLE_1)
	s_and_not1_b32 exec_lo, exec_lo, s2
	s_cbranch_execz .LBB0_8
.LBB0_6:                                ; =>This Inner Loop Header: Depth=1
	v_sub_nc_u64_e32 v[2:3], v[12:13], v[8:9]
	v_and_b32_e32 v0, 3, v8
	s_or_b32 s3, s3, exec_lo
	s_delay_alu instid0(VALU_DEP_1) | instskip(NEXT) | instid1(VALU_DEP_3)
	v_cmp_ne_u64_e32 vcc_lo, 0, v[0:1]
	v_cmp_gt_i64_e64 s0, 20, v[2:3]
	s_or_b32 s4, vcc_lo, s0
	s_delay_alu instid0(SALU_CYCLE_1)
	s_and_saveexec_b32 s0, s4
	s_cbranch_execz .LBB0_5
; %bb.7:                                ;   in Loop: Header=BB0_6 Depth=1
	global_load_u8 v0, v[8:9], off
	s_wait_xcnt 0x0
	v_add_nc_u64_e32 v[8:9], 1, v[8:9]
	v_lshrrev_b64 v[10:11], 8, v[14:15]
	s_and_not1_b32 s3, s3, exec_lo
	s_delay_alu instid0(VALU_DEP_2) | instskip(SKIP_1) | instid1(SALU_CYCLE_1)
	v_cmp_ge_u64_e32 vcc_lo, v[8:9], v[6:7]
	s_and_b32 s4, vcc_lo, exec_lo
	s_or_b32 s3, s3, s4
	s_wait_loadcnt 0x0
	v_xor_b32_e32 v0, v0, v14
	s_delay_alu instid0(VALU_DEP_1)
	v_and_b32_e32 v0, 0xff, v0
	global_load_b64 v[2:3], v0, s[10:11] offset:6144 scale_offset
	s_wait_loadcnt 0x0
	v_xor_b32_e32 v15, v3, v11
	v_xor_b32_e32 v14, v2, v10
	s_branch .LBB0_5
.LBB0_8:
	s_or_b32 exec_lo, exec_lo, s2
.LBB0_9:
	s_delay_alu instid0(SALU_CYCLE_1) | instskip(NEXT) | instid1(SALU_CYCLE_1)
	s_or_b32 exec_lo, exec_lo, s1
	s_mov_b32 s0, exec_lo
	v_cmpx_ne_u64_e64 v[8:9], v[6:7]
	s_cbranch_execz .LBB0_19
; %bb.10:
	s_clause 0x1
	global_load_b32 v24, v[8:9], off offset:16
	global_load_b128 v[0:3], v[8:9], off
	s_wait_xcnt 0x0
	v_add_nc_u64_e32 v[8:9], 20, v[8:9]
	v_mov_b64_e32 v[22:23], 0
	v_mov_b64_e32 v[16:17], 0
	;; [unrolled: 1-line block ×4, first 2 shown]
	v_sub_nc_u64_e32 v[10:11], v[12:13], v[8:9]
	s_delay_alu instid0(VALU_DEP_1)
	v_cmp_lt_i64_e32 vcc_lo, 19, v[10:11]
	v_mov_b64_e32 v[10:11], 0
	s_and_saveexec_b32 s1, vcc_lo
	s_cbranch_execz .LBB0_14
; %bb.11:
	v_mov_b64_e32 v[10:11], 0
	v_mov_b64_e32 v[16:17], 0
	;; [unrolled: 1-line block ×5, first 2 shown]
	s_mov_b32 s2, 0
.LBB0_12:                               ; =>This Inner Loop Header: Depth=1
	s_delay_alu instid0(VALU_DEP_1) | instskip(NEXT) | instid1(VALU_DEP_4)
	v_xor_b32_e32 v14, v14, v22
	v_xor_b32_e32 v16, v19, v16
	s_delay_alu instid0(VALU_DEP_4) | instskip(SKIP_2) | instid1(VALU_DEP_3)
	v_xor_b32_e32 v15, v15, v20
	v_xor_b32_e32 v18, v21, v18
	s_wait_loadcnt 0x0
	v_xor_b32_e32 v48, v3, v16
	v_xor_b32_e32 v22, v0, v14
	v_bitop3_b32 v0, v0, 0xff, v14 bitop3:0x48
	v_xor_b32_e32 v10, v17, v10
	v_xor_b32_e32 v23, v1, v15
	v_bitop3_b32 v1, v1, 0xff, v15 bitop3:0x48
	v_xor_b32_e32 v25, v2, v18
	v_bitop3_b32 v2, v2, 0xff, v18 bitop3:0x48
	v_bitop3_b32 v3, v3, 0xff, v16 bitop3:0x48
	s_clause 0x3
	global_load_b64 v[20:21], v0, s[12:13] scale_offset
	global_load_b64 v[18:19], v1, s[12:13] scale_offset
	global_load_b64 v[16:17], v2, s[12:13] scale_offset
	global_load_b64 v[14:15], v3, s[12:13] scale_offset
	s_wait_xcnt 0x0
	v_xor_b32_e32 v3, v24, v10
	v_bitop3_b32 v10, v24, 0xff, v10 bitop3:0x48
	v_dual_lshrrev_b32 v24, 5, v48 :: v_dual_lshrrev_b32 v0, 5, v22
	v_dual_lshrrev_b32 v35, 13, v22 :: v_dual_lshrrev_b32 v1, 5, v23
	;; [unrolled: 1-line block ×3, first 2 shown]
	s_delay_alu instid0(VALU_DEP_3) | instskip(SKIP_1) | instid1(VALU_DEP_4)
	v_and_b32_e32 v0, 0x7f8, v0
	v_lshrrev_b32_e32 v34, 5, v3
	v_and_b32_e32 v1, 0x7f8, v1
	s_delay_alu instid0(VALU_DEP_4)
	v_and_b32_e32 v2, 0x7f8, v2
	s_clause 0x3
	global_load_b64 v[26:27], v10, s[12:13] scale_offset
	global_load_b64 v[28:29], v0, s[12:13] offset:2048
	global_load_b64 v[30:31], v1, s[12:13] offset:2048
	;; [unrolled: 1-line block ×3, first 2 shown]
	s_wait_xcnt 0x2
	v_and_b32_e32 v0, 0x7f8, v24
	s_wait_xcnt 0x1
	v_and_b32_e32 v1, 0x7f8, v34
	;; [unrolled: 2-line block ×3, first 2 shown]
	v_and_b32_e32 v10, 0x7f8, v36
	v_dual_lshrrev_b32 v24, 13, v25 :: v_dual_lshrrev_b32 v42, 13, v48
	s_clause 0x3
	global_load_b64 v[34:35], v0, s[12:13] offset:2048
	global_load_b64 v[36:37], v1, s[12:13] offset:2048
	;; [unrolled: 1-line block ×4, first 2 shown]
	s_wait_xcnt 0x0
	v_dual_lshrrev_b32 v10, 21, v22 :: v_dual_lshrrev_b32 v22, 21, v23
	v_lshrrev_b32_e32 v43, 13, v3
	v_and_b32_e32 v0, 0x7f8, v24
	v_and_b32_e32 v1, 0x7f8, v42
	v_lshrrev_b32_e32 v3, 21, v3
	s_delay_alu instid0(VALU_DEP_4)
	v_and_b32_e32 v2, 0x7f8, v43
	s_clause 0x2
	global_load_b64 v[42:43], v0, s[12:13] offset:4096
	global_load_b64 v[44:45], v1, s[12:13] offset:4096
	;; [unrolled: 1-line block ×3, first 2 shown]
	s_wait_xcnt 0x0
	v_dual_lshrrev_b32 v0, 21, v25 :: v_dual_lshrrev_b32 v2, 21, v48
	v_and_b32_e32 v1, 0x7f8, v10
	v_and_b32_e32 v10, 0x7f8, v22
	s_delay_alu instid0(VALU_DEP_3) | instskip(NEXT) | instid1(VALU_DEP_4)
	v_and_b32_e32 v22, 0x7f8, v0
	v_and_b32_e32 v23, 0x7f8, v2
	s_clause 0x1
	global_load_b64 v[48:49], v1, s[12:13] offset:6144
	global_load_b64 v[50:51], v10, s[12:13] offset:6144
	s_wait_xcnt 0x0
	v_and_b32_e32 v10, 0x7f8, v3
	s_clause 0x2
	global_load_b64 v[52:53], v22, s[12:13] offset:6144
	global_load_b64 v[54:55], v23, s[12:13] offset:6144
	;; [unrolled: 1-line block ×3, first 2 shown]
	s_clause 0x1
	global_load_b32 v24, v[8:9], off offset:16
	global_load_b128 v[0:3], v[8:9], off
	s_wait_xcnt 0x0
	v_add_nc_u64_e32 v[8:9], 20, v[8:9]
	v_mov_b32_e32 v22, v11
	s_delay_alu instid0(VALU_DEP_2) | instskip(NEXT) | instid1(VALU_DEP_1)
	v_sub_nc_u64_e32 v[58:59], v[12:13], v[8:9]
	v_cmp_gt_i64_e32 vcc_lo, 20, v[58:59]
	s_or_b32 s2, vcc_lo, s2
	s_wait_loadcnt 0x10
	v_xor_b32_e32 v10, v29, v21
	v_xor_b32_e32 v11, v28, v20
	s_wait_loadcnt 0xf
	v_xor_b32_e32 v19, v31, v19
	v_xor_b32_e32 v18, v30, v18
	;; [unrolled: 3-line block ×15, first 2 shown]
	s_and_not1_b32 exec_lo, exec_lo, s2
	s_cbranch_execnz .LBB0_12
; %bb.13:
	s_or_b32 exec_lo, exec_lo, s2
.LBB0_14:
	s_delay_alu instid0(SALU_CYCLE_1) | instskip(SKIP_3) | instid1(VALU_DEP_1)
	s_or_b32 exec_lo, exec_lo, s1
	v_xor_b32_e32 v12, v22, v14
	s_mov_b32 s1, exec_lo
	s_wait_loadcnt 0x0
	v_xor_b32_e32 v14, v0, v12
	s_delay_alu instid0(VALU_DEP_1) | instskip(SKIP_1) | instid1(VALU_DEP_2)
	v_lshrrev_b32_e32 v22, 5, v14
	v_bitop3_b32 v0, v0, 0xff, v12 bitop3:0x48
	v_and_b32_e32 v22, 0x7f8, v22
	s_clause 0x1
	global_load_b64 v[12:13], v0, s[10:11] scale_offset
	global_load_b64 v[22:23], v22, s[10:11] offset:2048
	s_wait_xcnt 0x1
	v_dual_lshrrev_b32 v0, 13, v14 :: v_dual_lshrrev_b32 v14, 21, v14
	s_delay_alu instid0(VALU_DEP_1) | instskip(NEXT) | instid1(VALU_DEP_2)
	v_and_b32_e32 v0, 0x7f8, v0
	v_and_b32_e32 v14, 0x7f8, v14
	s_clause 0x1
	global_load_b64 v[26:27], v0, s[10:11] offset:4096
	global_load_b64 v[28:29], v14, s[10:11] offset:6144
	s_wait_xcnt 0x1
	v_xor_b32_e32 v0, v15, v20
	s_wait_loadcnt 0x3
	s_delay_alu instid0(VALU_DEP_1) | instskip(SKIP_1) | instid1(VALU_DEP_1)
	v_xor_b32_e32 v0, v0, v12
	s_wait_loadcnt 0x2
	v_xor_b32_e32 v0, v0, v22
	s_wait_loadcnt 0x1
	s_delay_alu instid0(VALU_DEP_1) | instskip(SKIP_1) | instid1(VALU_DEP_1)
	v_xor_b32_e32 v0, v0, v26
	s_wait_loadcnt 0x0
	v_xor_b32_e32 v0, v0, v28
	s_delay_alu instid0(VALU_DEP_1) | instskip(SKIP_2) | instid1(VALU_DEP_2)
	v_xor_b32_e32 v12, v1, v0
	v_bitop3_b32 v0, v1, 0xff, v0 bitop3:0x48
	s_wait_xcnt 0x0
	v_lshrrev_b32_e32 v14, 5, v12
	global_load_b64 v[0:1], v0, s[10:11] scale_offset
	v_dual_lshrrev_b32 v20, 13, v12 :: v_dual_lshrrev_b32 v12, 21, v12
	v_and_b32_e32 v14, 0x7f8, v14
	s_delay_alu instid0(VALU_DEP_2) | instskip(NEXT) | instid1(VALU_DEP_3)
	v_and_b32_e32 v20, 0x7f8, v20
	v_and_b32_e32 v12, 0x7f8, v12
	s_clause 0x2
	global_load_b64 v[14:15], v14, s[10:11] offset:2048
	global_load_b64 v[30:31], v20, s[10:11] offset:4096
	global_load_b64 v[32:33], v12, s[10:11] offset:6144
	s_wait_xcnt 0x0
	v_xor_b32_e32 v12, v21, v13
	s_delay_alu instid0(VALU_DEP_1) | instskip(NEXT) | instid1(VALU_DEP_1)
	v_xor_b32_e32 v12, v12, v23
	v_xor_b32_e32 v12, v12, v27
	s_delay_alu instid0(VALU_DEP_1) | instskip(SKIP_3) | instid1(VALU_DEP_1)
	v_xor_b32_e32 v12, v12, v29
	s_wait_loadcnt 0x3
	v_xor_b32_e32 v0, v0, v18
	s_wait_loadcnt 0x2
	v_xor_b32_e32 v0, v0, v14
	s_delay_alu instid0(VALU_DEP_1) | instskip(SKIP_1) | instid1(VALU_DEP_1)
	v_xor_b32_e32 v0, v0, v12
	s_wait_loadcnt 0x1
	v_xor_b32_e32 v0, v0, v30
	s_wait_loadcnt 0x0
	s_delay_alu instid0(VALU_DEP_1) | instskip(NEXT) | instid1(VALU_DEP_1)
	v_xor_b32_e32 v0, v0, v32
	v_xor_b32_e32 v14, v2, v0
	v_bitop3_b32 v0, v2, 0xff, v0 bitop3:0x48
	s_delay_alu instid0(VALU_DEP_2)
	v_lshrrev_b32_e32 v2, 5, v14
	global_load_b64 v[12:13], v0, s[10:11] scale_offset
	v_and_b32_e32 v2, 0x7f8, v2
	global_load_b64 v[20:21], v2, s[10:11] offset:2048
	s_wait_xcnt 0x1
	v_dual_lshrrev_b32 v0, 13, v14 :: v_dual_lshrrev_b32 v14, 21, v14
	s_delay_alu instid0(VALU_DEP_1) | instskip(SKIP_1) | instid1(VALU_DEP_2)
	v_and_b32_e32 v0, 0x7f8, v0
	s_wait_xcnt 0x0
	v_and_b32_e32 v2, 0x7f8, v14
	s_clause 0x1
	global_load_b64 v[22:23], v0, s[10:11] offset:4096
	global_load_b64 v[26:27], v2, s[10:11] offset:6144
	s_wait_xcnt 0x1
	v_xor_b32_e32 v0, v1, v19
	s_delay_alu instid0(VALU_DEP_1) | instskip(NEXT) | instid1(VALU_DEP_1)
	v_xor_b32_e32 v0, v0, v15
	v_xor_b32_e32 v0, v0, v31
	s_delay_alu instid0(VALU_DEP_1) | instskip(SKIP_3) | instid1(VALU_DEP_1)
	v_xor_b32_e32 v0, v0, v33
	s_wait_loadcnt 0x3
	v_xor_b32_e32 v1, v12, v16
	s_wait_loadcnt 0x2
	v_xor_b32_e32 v1, v1, v20
	s_wait_loadcnt 0x1
	s_delay_alu instid0(VALU_DEP_1) | instskip(SKIP_1) | instid1(VALU_DEP_1)
	v_xor_b32_e32 v1, v1, v22
	s_wait_loadcnt 0x0
	v_xor_b32_e32 v1, v1, v26
	s_delay_alu instid0(VALU_DEP_1) | instskip(SKIP_1) | instid1(VALU_DEP_1)
	v_xor_b32_e32 v0, v1, v0
	s_wait_xcnt 0x0
	v_xor_b32_e32 v2, v3, v0
	v_bitop3_b32 v0, v3, 0xff, v0 bitop3:0x48
	s_delay_alu instid0(VALU_DEP_2) | instskip(SKIP_3) | instid1(VALU_DEP_2)
	v_lshrrev_b32_e32 v3, 5, v2
	global_load_b64 v[0:1], v0, s[10:11] scale_offset
	v_dual_lshrrev_b32 v12, 13, v2 :: v_dual_lshrrev_b32 v14, 21, v2
	v_and_b32_e32 v3, 0x7f8, v3
	v_and_b32_e32 v12, 0x7f8, v12
	s_delay_alu instid0(VALU_DEP_3)
	v_and_b32_e32 v16, 0x7f8, v14
	s_clause 0x2
	global_load_b64 v[2:3], v3, s[10:11] offset:2048
	global_load_b64 v[14:15], v12, s[10:11] offset:4096
	;; [unrolled: 1-line block ×3, first 2 shown]
	s_wait_xcnt 0x1
	v_xor_b32_e32 v12, v13, v17
	s_wait_loadcnt 0x3
	v_xor_b32_e32 v0, v0, v10
	s_delay_alu instid0(VALU_DEP_2) | instskip(SKIP_1) | instid1(VALU_DEP_2)
	v_xor_b32_e32 v10, v12, v21
	s_wait_loadcnt 0x2
	v_xor_b32_e32 v0, v0, v2
	s_delay_alu instid0(VALU_DEP_2) | instskip(SKIP_1) | instid1(VALU_DEP_2)
	;; [unrolled: 4-line block ×3, first 2 shown]
	v_xor_b32_e32 v2, v2, v27
	s_wait_loadcnt 0x0
	v_xor_b32_e32 v0, v0, v18
	s_delay_alu instid0(VALU_DEP_1) | instskip(NEXT) | instid1(VALU_DEP_1)
	v_xor_b32_e32 v0, v0, v2
	v_xor_b32_e32 v2, v24, v0
	v_bitop3_b32 v0, v24, 0xff, v0 bitop3:0x48
	s_delay_alu instid0(VALU_DEP_2) | instskip(SKIP_1) | instid1(VALU_DEP_2)
	v_dual_lshrrev_b32 v10, 5, v2 :: v_dual_lshrrev_b32 v14, 13, v2
	v_lshrrev_b32_e32 v2, 21, v2
	v_and_b32_e32 v10, 0x7f8, v10
	s_clause 0x1
	global_load_b64 v[12:13], v0, s[10:11] scale_offset
	global_load_b64 v[16:17], v10, s[10:11] offset:2048
	s_wait_xcnt 0x1
	v_and_b32_e32 v0, 0x7f8, v14
	v_and_b32_e32 v2, 0x7f8, v2
	s_clause 0x1
	global_load_b64 v[20:21], v0, s[10:11] offset:4096
	global_load_b64 v[22:23], v2, s[10:11] offset:6144
	s_wait_xcnt 0x1
	v_xor_b32_e32 v0, v1, v11
	s_delay_alu instid0(VALU_DEP_1) | instskip(NEXT) | instid1(VALU_DEP_1)
	v_xor_b32_e32 v0, v0, v3
	v_xor_b32_e32 v0, v0, v15
	s_delay_alu instid0(VALU_DEP_1)
	v_xor_b32_e32 v0, v0, v19
	s_wait_loadcnt 0x2
	v_xor_b32_e32 v1, v16, v12
	s_wait_xcnt 0x0
	v_xor_b32_e32 v2, v17, v13
	s_wait_loadcnt 0x1
	s_delay_alu instid0(VALU_DEP_2) | instskip(NEXT) | instid1(VALU_DEP_2)
	v_xor_b32_e32 v1, v1, v20
	v_xor_b32_e32 v2, v2, v21
	s_wait_loadcnt 0x0
	s_delay_alu instid0(VALU_DEP_2) | instskip(NEXT) | instid1(VALU_DEP_2)
	v_xor_b32_e32 v1, v1, v22
	v_xor_b32_e32 v15, v2, v23
	s_delay_alu instid0(VALU_DEP_2)
	v_xor_b32_e32 v14, v1, v0
	v_cmpx_lt_u64_e64 v[8:9], v[6:7]
	s_cbranch_execz .LBB0_18
; %bb.15:
	s_mov_b32 s2, 0
.LBB0_16:                               ; =>This Inner Loop Header: Depth=1
	global_load_u8 v0, v[8:9], off
	s_wait_xcnt 0x0
	v_add_nc_u64_e32 v[8:9], 1, v[8:9]
	v_lshrrev_b64 v[2:3], 8, v[14:15]
	s_delay_alu instid0(VALU_DEP_2) | instskip(SKIP_3) | instid1(VALU_DEP_1)
	v_cmp_ge_u64_e32 vcc_lo, v[8:9], v[6:7]
	s_or_b32 s2, vcc_lo, s2
	s_wait_loadcnt 0x0
	v_xor_b32_e32 v0, v0, v14
	v_and_b32_e32 v0, 0xff, v0
	global_load_b64 v[0:1], v0, s[10:11] offset:6144 scale_offset
	s_wait_loadcnt 0x0
	v_xor_b32_e32 v15, v1, v3
	v_xor_b32_e32 v14, v0, v2
	s_wait_xcnt 0x0
	s_and_not1_b32 exec_lo, exec_lo, s2
	s_cbranch_execnz .LBB0_16
; %bb.17:
	s_or_b32 exec_lo, exec_lo, s2
.LBB0_18:
	s_delay_alu instid0(SALU_CYCLE_1)
	s_or_b32 exec_lo, exec_lo, s1
.LBB0_19:
	s_delay_alu instid0(SALU_CYCLE_1)
	s_or_b32 exec_lo, exec_lo, s0
	v_not_b32_e32 v1, v15
	v_not_b32_e32 v0, v14
	v_lshl_add_u64 v[2:3], v[4:5], 3, s[6:7]
	global_store_b64 v[2:3], v[0:1], off
	s_endpgm
.LBB0_20:
                                        ; implicit-def: $sgpr18_sgpr19
	s_load_b32 s0, s[0:1], 0x44
	s_branch .LBB0_2
	.section	.rodata,"a",@progbits
	.p2align	6, 0x0
	.amdhsa_kernel _Z12crc64_kernelPmS_PKhPKmS3_mi
		.amdhsa_group_segment_fixed_size 0
		.amdhsa_private_segment_fixed_size 0
		.amdhsa_kernarg_size 312
		.amdhsa_user_sgpr_count 2
		.amdhsa_user_sgpr_dispatch_ptr 0
		.amdhsa_user_sgpr_queue_ptr 0
		.amdhsa_user_sgpr_kernarg_segment_ptr 1
		.amdhsa_user_sgpr_dispatch_id 0
		.amdhsa_user_sgpr_kernarg_preload_length 0
		.amdhsa_user_sgpr_kernarg_preload_offset 0
		.amdhsa_user_sgpr_private_segment_size 0
		.amdhsa_wavefront_size32 1
		.amdhsa_uses_dynamic_stack 0
		.amdhsa_enable_private_segment 0
		.amdhsa_system_sgpr_workgroup_id_x 1
		.amdhsa_system_sgpr_workgroup_id_y 0
		.amdhsa_system_sgpr_workgroup_id_z 0
		.amdhsa_system_sgpr_workgroup_info 0
		.amdhsa_system_vgpr_workitem_id 0
		.amdhsa_next_free_vgpr 60
		.amdhsa_next_free_sgpr 29
		.amdhsa_named_barrier_count 0
		.amdhsa_reserve_vcc 1
		.amdhsa_float_round_mode_32 0
		.amdhsa_float_round_mode_16_64 0
		.amdhsa_float_denorm_mode_32 3
		.amdhsa_float_denorm_mode_16_64 3
		.amdhsa_fp16_overflow 0
		.amdhsa_memory_ordered 1
		.amdhsa_forward_progress 1
		.amdhsa_inst_pref_size 25
		.amdhsa_round_robin_scheduling 0
		.amdhsa_exception_fp_ieee_invalid_op 0
		.amdhsa_exception_fp_denorm_src 0
		.amdhsa_exception_fp_ieee_div_zero 0
		.amdhsa_exception_fp_ieee_overflow 0
		.amdhsa_exception_fp_ieee_underflow 0
		.amdhsa_exception_fp_ieee_inexact 0
		.amdhsa_exception_int_div_zero 0
	.end_amdhsa_kernel
	.text
.Lfunc_end0:
	.size	_Z12crc64_kernelPmS_PKhPKmS3_mi, .Lfunc_end0-_Z12crc64_kernelPmS_PKhPKmS3_mi
                                        ; -- End function
	.set _Z12crc64_kernelPmS_PKhPKmS3_mi.num_vgpr, 60
	.set _Z12crc64_kernelPmS_PKhPKmS3_mi.num_agpr, 0
	.set _Z12crc64_kernelPmS_PKhPKmS3_mi.numbered_sgpr, 29
	.set _Z12crc64_kernelPmS_PKhPKmS3_mi.num_named_barrier, 0
	.set _Z12crc64_kernelPmS_PKhPKmS3_mi.private_seg_size, 0
	.set _Z12crc64_kernelPmS_PKhPKmS3_mi.uses_vcc, 1
	.set _Z12crc64_kernelPmS_PKhPKmS3_mi.uses_flat_scratch, 0
	.set _Z12crc64_kernelPmS_PKhPKmS3_mi.has_dyn_sized_stack, 0
	.set _Z12crc64_kernelPmS_PKhPKmS3_mi.has_recursion, 0
	.set _Z12crc64_kernelPmS_PKhPKmS3_mi.has_indirect_call, 0
	.section	.AMDGPU.csdata,"",@progbits
; Kernel info:
; codeLenInByte = 3168
; TotalNumSgprs: 31
; NumVgprs: 60
; ScratchSize: 0
; MemoryBound: 0
; FloatMode: 240
; IeeeMode: 1
; LDSByteSize: 0 bytes/workgroup (compile time only)
; SGPRBlocks: 0
; VGPRBlocks: 3
; NumSGPRsForWavesPerEU: 31
; NumVGPRsForWavesPerEU: 60
; NamedBarCnt: 0
; Occupancy: 16
; WaveLimiterHint : 1
; COMPUTE_PGM_RSRC2:SCRATCH_EN: 0
; COMPUTE_PGM_RSRC2:USER_SGPR: 2
; COMPUTE_PGM_RSRC2:TRAP_HANDLER: 0
; COMPUTE_PGM_RSRC2:TGID_X_EN: 1
; COMPUTE_PGM_RSRC2:TGID_Y_EN: 0
; COMPUTE_PGM_RSRC2:TGID_Z_EN: 0
; COMPUTE_PGM_RSRC2:TIDIG_COMP_CNT: 0
	.text
	.p2alignl 7, 3214868480
	.fill 96, 4, 3214868480
	.section	.AMDGPU.gpr_maximums,"",@progbits
	.set amdgpu.max_num_vgpr, 0
	.set amdgpu.max_num_agpr, 0
	.set amdgpu.max_num_sgpr, 0
	.text
	.type	__hip_cuid_2981377042df3a54,@object ; @__hip_cuid_2981377042df3a54
	.section	.bss,"aw",@nobits
	.globl	__hip_cuid_2981377042df3a54
__hip_cuid_2981377042df3a54:
	.byte	0                               ; 0x0
	.size	__hip_cuid_2981377042df3a54, 1

	.ident	"AMD clang version 22.0.0git (https://github.com/RadeonOpenCompute/llvm-project roc-7.2.4 26084 f58b06dce1f9c15707c5f808fd002e18c2accf7e)"
	.section	".note.GNU-stack","",@progbits
	.addrsig
	.addrsig_sym __hip_cuid_2981377042df3a54
	.amdgpu_metadata
---
amdhsa.kernels:
  - .args:
      - .address_space:  global
        .offset:         0
        .size:           8
        .value_kind:     global_buffer
      - .address_space:  global
        .offset:         8
        .size:           8
        .value_kind:     global_buffer
      - .address_space:  global
        .offset:         16
        .size:           8
        .value_kind:     global_buffer
      - .address_space:  global
        .offset:         24
        .size:           8
        .value_kind:     global_buffer
      - .address_space:  global
        .offset:         32
        .size:           8
        .value_kind:     global_buffer
      - .offset:         40
        .size:           8
        .value_kind:     by_value
      - .offset:         48
        .size:           4
        .value_kind:     by_value
      - .offset:         56
        .size:           4
        .value_kind:     hidden_block_count_x
      - .offset:         60
        .size:           4
        .value_kind:     hidden_block_count_y
      - .offset:         64
        .size:           4
        .value_kind:     hidden_block_count_z
      - .offset:         68
        .size:           2
        .value_kind:     hidden_group_size_x
      - .offset:         70
        .size:           2
        .value_kind:     hidden_group_size_y
      - .offset:         72
        .size:           2
        .value_kind:     hidden_group_size_z
      - .offset:         74
        .size:           2
        .value_kind:     hidden_remainder_x
      - .offset:         76
        .size:           2
        .value_kind:     hidden_remainder_y
      - .offset:         78
        .size:           2
        .value_kind:     hidden_remainder_z
      - .offset:         96
        .size:           8
        .value_kind:     hidden_global_offset_x
      - .offset:         104
        .size:           8
        .value_kind:     hidden_global_offset_y
      - .offset:         112
        .size:           8
        .value_kind:     hidden_global_offset_z
      - .offset:         120
        .size:           2
        .value_kind:     hidden_grid_dims
    .group_segment_fixed_size: 0
    .kernarg_segment_align: 8
    .kernarg_segment_size: 312
    .language:       OpenCL C
    .language_version:
      - 2
      - 0
    .max_flat_workgroup_size: 1024
    .name:           _Z12crc64_kernelPmS_PKhPKmS3_mi
    .private_segment_fixed_size: 0
    .sgpr_count:     31
    .sgpr_spill_count: 0
    .symbol:         _Z12crc64_kernelPmS_PKhPKmS3_mi.kd
    .uniform_work_group_size: 1
    .uses_dynamic_stack: false
    .vgpr_count:     60
    .vgpr_spill_count: 0
    .wavefront_size: 32
amdhsa.target:   amdgcn-amd-amdhsa--gfx1250
amdhsa.version:
  - 1
  - 2
...

	.end_amdgpu_metadata
